;; amdgpu-corpus repo=ROCm/rocFFT kind=compiled arch=gfx950 opt=O3
	.text
	.amdgcn_target "amdgcn-amd-amdhsa--gfx950"
	.amdhsa_code_object_version 6
	.protected	fft_rtc_fwd_len1870_factors_17_10_11_wgs_187_tpt_187_halfLds_half_ip_CI_unitstride_sbrr_dirReg ; -- Begin function fft_rtc_fwd_len1870_factors_17_10_11_wgs_187_tpt_187_halfLds_half_ip_CI_unitstride_sbrr_dirReg
	.globl	fft_rtc_fwd_len1870_factors_17_10_11_wgs_187_tpt_187_halfLds_half_ip_CI_unitstride_sbrr_dirReg
	.p2align	8
	.type	fft_rtc_fwd_len1870_factors_17_10_11_wgs_187_tpt_187_halfLds_half_ip_CI_unitstride_sbrr_dirReg,@function
fft_rtc_fwd_len1870_factors_17_10_11_wgs_187_tpt_187_halfLds_half_ip_CI_unitstride_sbrr_dirReg: ; @fft_rtc_fwd_len1870_factors_17_10_11_wgs_187_tpt_187_halfLds_half_ip_CI_unitstride_sbrr_dirReg
; %bb.0:
	s_load_dwordx2 s[8:9], s[0:1], 0x50
	s_load_dwordx4 s[4:7], s[0:1], 0x0
	s_load_dwordx2 s[10:11], s[0:1], 0x18
	v_mul_u32_u24_e32 v1, 0x15f, v0
	v_add_u32_sdwa v6, s2, v1 dst_sel:DWORD dst_unused:UNUSED_PAD src0_sel:DWORD src1_sel:WORD_1
	v_mov_b32_e32 v4, 0
	s_waitcnt lgkmcnt(0)
	v_cmp_lt_u64_e64 s[2:3], s[6:7], 2
	v_mov_b32_e32 v7, v4
	s_and_b64 vcc, exec, s[2:3]
	v_mov_b64_e32 v[2:3], 0
	s_cbranch_vccnz .LBB0_8
; %bb.1:
	s_load_dwordx2 s[2:3], s[0:1], 0x10
	s_add_u32 s12, s10, 8
	s_addc_u32 s13, s11, 0
	s_mov_b64 s[14:15], 1
	v_mov_b64_e32 v[2:3], 0
	s_waitcnt lgkmcnt(0)
	s_add_u32 s16, s2, 8
	s_addc_u32 s17, s3, 0
.LBB0_2:                                ; =>This Inner Loop Header: Depth=1
	s_load_dwordx2 s[18:19], s[16:17], 0x0
                                        ; implicit-def: $vgpr8_vgpr9
	s_waitcnt lgkmcnt(0)
	v_or_b32_e32 v5, s19, v7
	v_cmp_ne_u64_e32 vcc, 0, v[4:5]
	s_and_saveexec_b64 s[2:3], vcc
	s_xor_b64 s[20:21], exec, s[2:3]
	s_cbranch_execz .LBB0_4
; %bb.3:                                ;   in Loop: Header=BB0_2 Depth=1
	v_cvt_f32_u32_e32 v1, s18
	v_cvt_f32_u32_e32 v5, s19
	s_sub_u32 s2, 0, s18
	s_subb_u32 s3, 0, s19
	v_fmac_f32_e32 v1, 0x4f800000, v5
	v_rcp_f32_e32 v1, v1
	s_nop 0
	v_mul_f32_e32 v1, 0x5f7ffffc, v1
	v_mul_f32_e32 v5, 0x2f800000, v1
	v_trunc_f32_e32 v5, v5
	v_fmac_f32_e32 v1, 0xcf800000, v5
	v_cvt_u32_f32_e32 v5, v5
	v_cvt_u32_f32_e32 v1, v1
	v_mul_lo_u32 v8, s2, v5
	v_mul_hi_u32 v10, s2, v1
	v_mul_lo_u32 v9, s3, v1
	v_add_u32_e32 v10, v10, v8
	v_mul_lo_u32 v12, s2, v1
	v_add_u32_e32 v13, v10, v9
	v_mul_hi_u32 v8, v1, v12
	v_mul_hi_u32 v11, v1, v13
	v_mul_lo_u32 v10, v1, v13
	v_mov_b32_e32 v9, v4
	v_lshl_add_u64 v[8:9], v[8:9], 0, v[10:11]
	v_mul_hi_u32 v11, v5, v12
	v_mul_lo_u32 v12, v5, v12
	v_add_co_u32_e32 v8, vcc, v8, v12
	v_mul_hi_u32 v10, v5, v13
	s_nop 0
	v_addc_co_u32_e32 v8, vcc, v9, v11, vcc
	v_mov_b32_e32 v9, v4
	s_nop 0
	v_addc_co_u32_e32 v11, vcc, 0, v10, vcc
	v_mul_lo_u32 v10, v5, v13
	v_lshl_add_u64 v[8:9], v[8:9], 0, v[10:11]
	v_add_co_u32_e32 v1, vcc, v1, v8
	v_mul_lo_u32 v10, s2, v1
	s_nop 0
	v_addc_co_u32_e32 v5, vcc, v5, v9, vcc
	v_mul_lo_u32 v8, s2, v5
	v_mul_hi_u32 v9, s2, v1
	v_add_u32_e32 v8, v9, v8
	v_mul_lo_u32 v9, s3, v1
	v_add_u32_e32 v12, v8, v9
	v_mul_hi_u32 v14, v5, v10
	v_mul_lo_u32 v15, v5, v10
	v_mul_hi_u32 v9, v1, v12
	v_mul_lo_u32 v8, v1, v12
	v_mul_hi_u32 v10, v1, v10
	v_mov_b32_e32 v11, v4
	v_lshl_add_u64 v[8:9], v[10:11], 0, v[8:9]
	v_add_co_u32_e32 v8, vcc, v8, v15
	v_mul_hi_u32 v13, v5, v12
	s_nop 0
	v_addc_co_u32_e32 v8, vcc, v9, v14, vcc
	v_mul_lo_u32 v10, v5, v12
	s_nop 0
	v_addc_co_u32_e32 v11, vcc, 0, v13, vcc
	v_mov_b32_e32 v9, v4
	v_lshl_add_u64 v[8:9], v[8:9], 0, v[10:11]
	v_add_co_u32_e32 v1, vcc, v1, v8
	v_mul_hi_u32 v10, v6, v1
	s_nop 0
	v_addc_co_u32_e32 v5, vcc, v5, v9, vcc
	v_mad_u64_u32 v[8:9], s[2:3], v6, v5, 0
	v_mov_b32_e32 v11, v4
	v_lshl_add_u64 v[8:9], v[10:11], 0, v[8:9]
	v_mad_u64_u32 v[12:13], s[2:3], v7, v1, 0
	v_add_co_u32_e32 v1, vcc, v8, v12
	v_mad_u64_u32 v[10:11], s[2:3], v7, v5, 0
	s_nop 0
	v_addc_co_u32_e32 v8, vcc, v9, v13, vcc
	v_mov_b32_e32 v9, v4
	s_nop 0
	v_addc_co_u32_e32 v11, vcc, 0, v11, vcc
	v_lshl_add_u64 v[8:9], v[8:9], 0, v[10:11]
	v_mul_lo_u32 v1, s19, v8
	v_mul_lo_u32 v5, s18, v9
	v_mad_u64_u32 v[10:11], s[2:3], s18, v8, 0
	v_add3_u32 v1, v11, v5, v1
	v_sub_u32_e32 v5, v7, v1
	v_mov_b32_e32 v11, s19
	v_sub_co_u32_e32 v14, vcc, v6, v10
	v_lshl_add_u64 v[12:13], v[8:9], 0, 1
	s_nop 0
	v_subb_co_u32_e64 v5, s[2:3], v5, v11, vcc
	v_subrev_co_u32_e64 v10, s[2:3], s18, v14
	v_subb_co_u32_e32 v1, vcc, v7, v1, vcc
	s_nop 0
	v_subbrev_co_u32_e64 v5, s[2:3], 0, v5, s[2:3]
	v_cmp_le_u32_e64 s[2:3], s19, v5
	v_cmp_le_u32_e32 vcc, s19, v1
	s_nop 0
	v_cndmask_b32_e64 v11, 0, -1, s[2:3]
	v_cmp_le_u32_e64 s[2:3], s18, v10
	s_nop 1
	v_cndmask_b32_e64 v10, 0, -1, s[2:3]
	v_cmp_eq_u32_e64 s[2:3], s19, v5
	s_nop 1
	v_cndmask_b32_e64 v5, v11, v10, s[2:3]
	v_lshl_add_u64 v[10:11], v[8:9], 0, 2
	v_cmp_ne_u32_e64 s[2:3], 0, v5
	s_nop 1
	v_cndmask_b32_e64 v5, v13, v11, s[2:3]
	v_cndmask_b32_e64 v11, 0, -1, vcc
	v_cmp_le_u32_e32 vcc, s18, v14
	s_nop 1
	v_cndmask_b32_e64 v13, 0, -1, vcc
	v_cmp_eq_u32_e32 vcc, s19, v1
	s_nop 1
	v_cndmask_b32_e32 v1, v11, v13, vcc
	v_cmp_ne_u32_e32 vcc, 0, v1
	v_cndmask_b32_e64 v1, v12, v10, s[2:3]
	s_nop 0
	v_cndmask_b32_e32 v9, v9, v5, vcc
	v_cndmask_b32_e32 v8, v8, v1, vcc
.LBB0_4:                                ;   in Loop: Header=BB0_2 Depth=1
	s_andn2_saveexec_b64 s[2:3], s[20:21]
	s_cbranch_execz .LBB0_6
; %bb.5:                                ;   in Loop: Header=BB0_2 Depth=1
	v_cvt_f32_u32_e32 v1, s18
	s_sub_i32 s20, 0, s18
	v_rcp_iflag_f32_e32 v1, v1
	s_nop 0
	v_mul_f32_e32 v1, 0x4f7ffffe, v1
	v_cvt_u32_f32_e32 v1, v1
	v_mul_lo_u32 v5, s20, v1
	v_mul_hi_u32 v5, v1, v5
	v_add_u32_e32 v1, v1, v5
	v_mul_hi_u32 v1, v6, v1
	v_mul_lo_u32 v5, v1, s18
	v_sub_u32_e32 v5, v6, v5
	v_add_u32_e32 v8, 1, v1
	v_subrev_u32_e32 v9, s18, v5
	v_cmp_le_u32_e32 vcc, s18, v5
	s_nop 1
	v_cndmask_b32_e32 v5, v5, v9, vcc
	v_cndmask_b32_e32 v1, v1, v8, vcc
	v_add_u32_e32 v8, 1, v1
	v_cmp_le_u32_e32 vcc, s18, v5
	v_mov_b32_e32 v9, v4
	s_nop 0
	v_cndmask_b32_e32 v8, v1, v8, vcc
.LBB0_6:                                ;   in Loop: Header=BB0_2 Depth=1
	s_or_b64 exec, exec, s[2:3]
	v_mad_u64_u32 v[10:11], s[2:3], v8, s18, 0
	s_load_dwordx2 s[2:3], s[12:13], 0x0
	v_mul_lo_u32 v1, v9, s18
	v_mul_lo_u32 v5, v8, s19
	v_add3_u32 v1, v11, v5, v1
	v_sub_co_u32_e32 v5, vcc, v6, v10
	s_add_u32 s14, s14, 1
	s_nop 0
	v_subb_co_u32_e32 v1, vcc, v7, v1, vcc
	s_addc_u32 s15, s15, 0
	s_waitcnt lgkmcnt(0)
	v_mul_lo_u32 v1, s2, v1
	v_mul_lo_u32 v6, s3, v5
	v_mad_u64_u32 v[2:3], s[2:3], s2, v5, v[2:3]
	s_add_u32 s12, s12, 8
	v_add3_u32 v3, v6, v3, v1
	s_addc_u32 s13, s13, 0
	v_mov_b64_e32 v[6:7], s[6:7]
	s_add_u32 s16, s16, 8
	v_cmp_ge_u64_e32 vcc, s[14:15], v[6:7]
	s_addc_u32 s17, s17, 0
	s_cbranch_vccnz .LBB0_9
; %bb.7:                                ;   in Loop: Header=BB0_2 Depth=1
	v_mov_b64_e32 v[6:7], v[8:9]
	s_branch .LBB0_2
.LBB0_8:
	v_mov_b64_e32 v[8:9], v[6:7]
.LBB0_9:
	s_lshl_b64 s[2:3], s[6:7], 3
	s_add_u32 s2, s10, s2
	s_addc_u32 s3, s11, s3
	s_load_dwordx2 s[6:7], s[2:3], 0x0
	s_load_dwordx2 s[10:11], s[0:1], 0x20
	v_mov_b32_e32 v28, 0
                                        ; implicit-def: $vgpr7
                                        ; implicit-def: $vgpr5
                                        ; implicit-def: $vgpr6
                                        ; implicit-def: $vgpr23
                                        ; implicit-def: $vgpr10
                                        ; implicit-def: $vgpr24
                                        ; implicit-def: $vgpr11
                                        ; implicit-def: $vgpr25
                                        ; implicit-def: $vgpr12
                                        ; implicit-def: $vgpr26
                                        ; implicit-def: $vgpr13
                                        ; implicit-def: $vgpr27
                                        ; implicit-def: $vgpr14
                                        ; implicit-def: $vgpr29
                                        ; implicit-def: $vgpr15
                                        ; implicit-def: $vgpr37
                                        ; implicit-def: $vgpr16
                                        ; implicit-def: $vgpr36
                                        ; implicit-def: $vgpr17
                                        ; implicit-def: $vgpr35
                                        ; implicit-def: $vgpr18
                                        ; implicit-def: $vgpr34
                                        ; implicit-def: $vgpr19
                                        ; implicit-def: $vgpr33
                                        ; implicit-def: $vgpr20
                                        ; implicit-def: $vgpr32
                                        ; implicit-def: $vgpr21
                                        ; implicit-def: $vgpr31
                                        ; implicit-def: $vgpr22
                                        ; implicit-def: $vgpr30
	s_waitcnt lgkmcnt(0)
	v_mad_u64_u32 v[2:3], s[0:1], s6, v8, v[2:3]
	v_mul_lo_u32 v1, s6, v9
	v_mul_lo_u32 v4, s7, v8
	s_mov_b32 s0, 0x15e75bc
	v_add3_u32 v3, v4, v3, v1
	v_mul_hi_u32 v1, v0, s0
	v_mul_u32_u24_e32 v1, 0xbb, v1
	v_sub_u32_e32 v0, v0, v1
	s_movk_i32 s0, 0x6e
	v_cmp_gt_u64_e32 vcc, s[10:11], v[8:9]
	v_cmp_gt_u32_e64 s[0:1], s0, v0
	s_and_b64 s[2:3], vcc, s[0:1]
	v_mov_b32_e32 v4, 0
	v_lshl_add_u64 v[2:3], v[2:3], 2, s[8:9]
                                        ; implicit-def: $vgpr8
                                        ; implicit-def: $vgpr9
	s_and_saveexec_b64 s[6:7], s[2:3]
	s_cbranch_execz .LBB0_11
; %bb.10:
	v_mov_b32_e32 v1, 0
	v_lshl_add_u64 v[8:9], v[0:1], 2, v[2:3]
	s_movk_i32 s2, 0x1000
	v_add_co_u32_e64 v10, s[2:3], s2, v8
	global_load_dword v28, v[8:9], off
	global_load_dword v5, v[8:9], off offset:440
	global_load_dword v6, v[8:9], off offset:880
	;; [unrolled: 1-line block ×7, first 2 shown]
	v_addc_co_u32_e64 v11, s[2:3], 0, v9, s[2:3]
	global_load_dword v29, v[8:9], off offset:3520
	global_load_dword v30, v[8:9], off offset:3960
	;; [unrolled: 1-line block ×9, first 2 shown]
	s_waitcnt vmcnt(16)
	v_lshrrev_b32_e32 v4, 16, v28
	s_waitcnt vmcnt(15)
	v_lshrrev_b32_e32 v7, 16, v5
	;; [unrolled: 2-line block ×17, first 2 shown]
.LBB0_11:
	s_or_b64 exec, exec, s[6:7]
	v_add_f16_e32 v54, v5, v37
	v_sub_f16_e32 v38, v7, v15
	v_mul_f16_e32 v52, 0xbacd, v54
	s_mov_b32 s7, 0xb836
	v_add_f16_e32 v55, v6, v36
	v_fma_f16 v1, v38, s7, v52
	v_sub_f16_e32 v39, v8, v16
	v_mul_f16_e32 v53, 0x3722, v55
	s_movk_i32 s6, 0x3b29
	v_add_f16_e32 v1, v28, v1
	v_fma_f16 v40, v39, s6, v53
	v_add_f16_e32 v56, v23, v35
	v_add_f16_e32 v1, v1, v40
	v_sub_f16_e32 v40, v9, v17
	v_mul_f16_e32 v46, 0x2de8, v56
	s_mov_b32 s2, 0xbbf7
	v_fma_f16 v41, v40, s2, v46
	v_add_f16_e32 v57, v24, v34
	v_add_f16_e32 v1, v1, v41
	v_sub_f16_e32 v41, v10, v18
	v_mul_f16_e32 v47, 0xb8d2, v57
	s_movk_i32 s2, 0x3a62
	v_fma_f16 v42, v41, s2, v47
	v_add_f16_e32 v58, v25, v33
	v_add_f16_e32 v1, v1, v42
	v_sub_f16_e32 v42, v11, v19
	v_mul_f16_e32 v48, 0x3b76, v58
	s_mov_b32 s2, 0xb5c8
	v_fma_f16 v43, v42, s2, v48
	v_add_f16_e32 v59, v26, v32
	v_add_f16_e32 v1, v1, v43
	v_sub_f16_e32 v43, v12, v20
	v_mul_f16_e32 v49, 0xbbdd, v59
	s_mov_b32 s23, 0xb1e1
	v_fma_f16 v44, v43, s23, v49
	v_add_f16_e32 v60, v27, v31
	v_add_f16_e32 v1, v1, v44
	v_sub_f16_e32 v44, v13, v21
	v_mul_f16_e32 v50, 0x39e9, v60
	s_movk_i32 s22, 0x3964
	v_fma_f16 v45, v44, s22, v50
	v_add_f16_e32 v61, v29, v30
	v_add_f16_e32 v1, v1, v45
	v_sub_f16_e32 v45, v14, v22
	v_mul_f16_e32 v51, 0xb461, v61
	s_mov_b32 s21, 0xbbb2
	v_fma_f16 v62, v45, s21, v51
	v_add_f16_e32 v1, v1, v62
	s_and_saveexec_b64 s[2:3], s[0:1]
	s_cbranch_execz .LBB0_13
; %bb.12:
	s_mov_b32 s14, 0x39e93b76
	v_pk_mul_f16 v72, v54, s14 op_sel_hi:[0,1]
	s_mov_b32 s14, 0xb964b5c8
	s_mov_b32 s15, 0x2de839e9
	v_pk_mul_f16 v73, v55, s15 op_sel_hi:[0,1]
	s_mov_b32 s15, 0xbbf7b964
	s_mov_b32 s16, 0xb8d23722
	v_pk_fma_f16 v62, v38, s14, v72 op_sel_hi:[0,1,1] neg_lo:[1,0,0] neg_hi:[1,0,0]
	v_pk_mul_f16 v74, v56, s16 op_sel_hi:[0,1]
	s_mov_b32 s16, 0xba62bb29
	s_mov_b32 s17, 0xbbdd2de8
	v_pk_add_f16 v62, v28, v62 op_sel_hi:[0,1]
	v_pk_fma_f16 v63, v39, s15, v73 op_sel_hi:[0,1,1] neg_lo:[1,0,0] neg_hi:[1,0,0]
	v_pk_mul_f16 v75, v57, s17 op_sel_hi:[0,1]
	s_mov_b32 s17, 0xb1e1bbf7
	s_mov_b32 s18, 0xbacdb461
	v_pk_add_f16 v62, v62, v63
	v_pk_fma_f16 v63, v40, s16, v74 op_sel_hi:[0,1,1] neg_lo:[1,0,0] neg_hi:[1,0,0]
	v_pk_mul_f16 v76, v58, s18 op_sel_hi:[0,1]
	s_mov_b32 s18, 0x3836bbb2
	s_mov_b32 s19, 0xb461b8d2
	v_pk_add_f16 v62, v62, v63
	;; [unrolled: 5-line block ×3, first 2 shown]
	v_pk_fma_f16 v63, v42, s18, v76 op_sel_hi:[0,1,1] neg_lo:[1,0,0] neg_hi:[1,0,0]
	s_mov_b32 s8, 0x2de83722
	v_pk_mul_f16 v78, v60, s20 op_sel_hi:[0,1]
	s_mov_b32 s20, 0x3b29b836
	v_pk_add_f16 v62, v62, v63
	v_pk_fma_f16 v63, v43, s19, v77 op_sel_hi:[0,1,1] neg_lo:[1,0,0] neg_hi:[1,0,0]
	v_pk_mul_f16 v66, v54, s8 op_sel_hi:[0,1]
	s_mov_b32 s8, 0xbbf7bb29
	s_mov_b32 s9, 0xbbddb8d2
	v_pk_add_f16 v62, v62, v63
	v_pk_fma_f16 v63, v44, s20, v78 op_sel_hi:[0,1,1] neg_lo:[1,0,0] neg_hi:[1,0,0]
	v_pk_mul_f16 v67, v55, s9 op_sel_hi:[0,1]
	s_mov_b32 s9, 0xb1e1ba62
	;; [unrolled: 5-line block ×3, first 2 shown]
	s_mov_b32 s11, 0x3b76b461
	v_pk_add_f16 v63, v28, v63 op_sel_hi:[0,1]
	v_pk_fma_f16 v64, v39, s9, v67 op_sel_hi:[0,1,1] neg_lo:[1,0,0] neg_hi:[1,0,0]
	v_pk_mul_f16 v69, v57, s11 op_sel_hi:[0,1]
	s_mov_b32 s11, 0x35c83bb2
	s_mov_b32 s12, 0x372239e9
	v_pk_add_f16 v63, v63, v64
	v_pk_fma_f16 v64, v40, s10, v68 op_sel_hi:[0,1,1] neg_lo:[1,0,0] neg_hi:[1,0,0]
	v_pk_mul_f16 v70, v58, s12 op_sel_hi:[0,1]
	s_mov_b32 s12, 0xbb293964
	s_mov_b32 s13, 0xbacd3b76
	v_pk_add_f16 v63, v63, v64
	;; [unrolled: 5-line block ×3, first 2 shown]
	v_pk_fma_f16 v64, v42, s12, v70 op_sel_hi:[0,1,1] neg_lo:[1,0,0] neg_hi:[1,0,0]
	v_pk_add_f16 v63, v63, v64
	v_pk_fma_f16 v64, v43, s13, v71 op_sel_hi:[0,1,1] neg_lo:[1,0,0] neg_hi:[1,0,0]
	v_pk_mul_f16 v79, v60, s24 op_sel_hi:[0,1]
	s_mov_b32 s24, 0x3a62bbf7
	s_mov_b32 s25, 0x39e9bacd
	;; [unrolled: 1-line block ×3, first 2 shown]
	v_pk_add_f16 v63, v63, v64
	v_pk_fma_f16 v64, v44, s24, v79 op_sel_hi:[0,1,1] neg_lo:[1,0,0] neg_hi:[1,0,0]
	s_mov_b32 s28, 0x35c8b1e1
	v_pk_mul_f16 v80, v61, s25 op_sel_hi:[0,1]
	v_pk_mul_f16 v81, v61, s27 op_sel_hi:[0,1]
	s_mov_b32 s25, 0xb8d2b461
	v_pk_add_f16 v63, v63, v64
	s_mov_b32 s26, 0x3964b836
	v_pk_fma_f16 v64, v45, s28, v81 op_sel_hi:[0,1,1] neg_lo:[1,0,0] neg_hi:[1,0,0]
	s_mov_b32 s27, 0xba62bbb2
	s_mov_b32 s29, 0xb461bacd
	v_pk_mul_f16 v82, v54, s25 op_sel_hi:[0,1]
	v_pk_fma_f16 v65, v45, s26, v80 op_sel_hi:[0,1,1] neg_lo:[1,0,0] neg_hi:[1,0,0]
	v_pk_add_f16 v62, v62, v64
	s_mov_b32 s30, 0x3bb23836
	v_pk_fma_f16 v64, v38, s27, v82 op_sel_hi:[0,1,1] neg_lo:[1,0,0] neg_hi:[1,0,0]
	v_pk_mul_f16 v83, v55, s29 op_sel_hi:[0,1]
	s_mov_b32 s25, 0x3b7639e9
	v_pk_add_f16 v63, v63, v65
	v_pk_add_f16 v64, v28, v64 op_sel_hi:[0,1]
	v_pk_fma_f16 v65, v39, s30, v83 op_sel_hi:[0,1,1] neg_lo:[1,0,0] neg_hi:[1,0,0]
	s_mov_b32 s29, 0xb5c83964
	v_pk_mul_f16 v84, v56, s25 op_sel_hi:[0,1]
	s_mov_b32 s25, 0xbacd3722
	v_pk_add_f16 v64, v64, v65
	v_pk_fma_f16 v65, v40, s29, v84 op_sel_hi:[0,1,1] neg_lo:[1,0,0] neg_hi:[1,0,0]
	s_mov_b32 s31, 0xb836bb29
	v_pk_mul_f16 v85, v57, s25 op_sel_hi:[0,1]
	s_mov_b32 s25, 0x2de8bbdd
	v_pk_add_f16 v64, v64, v65
	;; [unrolled: 5-line block ×5, first 2 shown]
	v_pk_fma_f16 v65, v44, s35, v88 op_sel_hi:[0,1,1] neg_lo:[1,0,0] neg_hi:[1,0,0]
	s_mov_b32 s36, 0x3b29ba62
	v_pk_mul_f16 v89, v61, s25 op_sel_hi:[0,1]
	v_pk_add_f16 v64, v64, v65
	v_pk_fma_f16 v65, v45, s36, v89 op_sel_hi:[0,1,1] neg_lo:[1,0,0] neg_hi:[1,0,0]
	v_mul_f16_e32 v54, 0xbbdd, v54
	v_pk_add_f16 v64, v64, v65
	v_fma_f16 v65, v38, s23, v54
	v_mul_f16_e32 v55, 0x3b76, v55
	s_movk_i32 s23, 0x35c8
	v_add_f16_e32 v65, v28, v65
	v_fma_f16 v90, v39, s23, v55
	v_mul_f16_e32 v56, 0xbacd, v56
	v_add_f16_e32 v65, v65, v90
	v_fma_f16 v90, v40, s7, v56
	v_mul_f16_e32 v57, 0x39e9, v57
	v_add_f16_e32 v65, v65, v90
	v_fma_f16 v90, v41, s22, v57
	v_mul_f16_e32 v58, 0xb8d2, v58
	s_mov_b32 s7, 0xba62
	v_add_f16_e32 v65, v65, v90
	v_fma_f16 v90, v42, s7, v58
	v_mul_f16_e32 v59, 0x3722, v59
	v_add_f16_e32 v65, v65, v90
	v_fma_f16 v90, v43, s6, v59
	v_mul_f16_e32 v60, 0xb461, v60
	;; [unrolled: 3-line block ×3, first 2 shown]
	s_movk_i32 s6, 0x3bf7
	v_add_f16_e32 v65, v65, v90
	v_fma_f16 v90, v45, s6, v61
	v_add_f16_e32 v90, v65, v90
	v_add_f16_e32 v65, v28, v5
	;; [unrolled: 1-line block ×17, first 2 shown]
	v_mad_u32_u24 v91, v0, 34, 0
	s_mov_b32 s6, 0x5040100
	ds_write_b16 v91, v65
	v_perm_b32 v52, v54, v52, s6
	v_mul_f16_e32 v54, 0xb836, v38
	v_mul_f16_e32 v65, 0xb1e1, v38
	v_perm_b32 v54, v65, v54, s6
	v_pk_add_f16 v52, v52, v54 neg_lo:[0,1] neg_hi:[0,1]
	v_perm_b32 v53, v55, v53, s6
	v_mul_f16_e32 v54, 0x3b29, v39
	v_mul_f16_e32 v55, 0x35c8, v39
	v_perm_b32 v54, v55, v54, s6
	v_pk_add_f16 v53, v53, v54 neg_lo:[0,1] neg_hi:[0,1]
	v_pk_add_f16 v52, v28, v52 op_sel_hi:[0,1]
	v_pk_add_f16 v52, v52, v53
	v_mul_f16_e32 v53, 0xbbf7, v40
	v_mul_f16_e32 v54, 0xb836, v40
	v_perm_b32 v46, v56, v46, s6
	v_perm_b32 v53, v54, v53, s6
	v_pk_add_f16 v46, v46, v53 neg_lo:[0,1] neg_hi:[0,1]
	v_mul_f16_e32 v53, 0x3964, v41
	v_pk_add_f16 v46, v52, v46
	v_mul_f16_e32 v52, 0x3a62, v41
	v_perm_b32 v47, v57, v47, s6
	v_perm_b32 v52, v53, v52, s6
	v_pk_add_f16 v47, v47, v52 neg_lo:[0,1] neg_hi:[0,1]
	v_mul_f16_e32 v52, 0xba62, v42
	v_pk_add_f16 v46, v46, v47
	v_perm_b32 v47, v58, v48, s6
	v_mul_f16_e32 v48, 0xb5c8, v42
	v_perm_b32 v48, v52, v48, s6
	v_pk_add_f16 v47, v47, v48 neg_lo:[0,1] neg_hi:[0,1]
	v_mul_f16_e32 v48, 0xb1e1, v43
	v_pk_add_f16 v46, v46, v47
	v_perm_b32 v47, v59, v49, s6
	v_mul_f16_e32 v49, 0x3b29, v43
	v_perm_b32 v48, v49, v48, s6
	v_pk_add_f16 v47, v47, v48 neg_lo:[0,1] neg_hi:[0,1]
	v_mul_f16_e32 v48, 0x3964, v44
	v_mul_f16_e32 v49, 0xbbb2, v44
	v_pk_add_f16 v46, v46, v47
	v_perm_b32 v47, v60, v50, s6
	v_perm_b32 v48, v49, v48, s6
	v_pk_add_f16 v47, v47, v48 neg_lo:[0,1] neg_hi:[0,1]
	v_mul_f16_e32 v48, 0xbbb2, v45
	v_mul_f16_e32 v49, 0x3bf7, v45
	v_pk_add_f16 v46, v46, v47
	v_perm_b32 v47, v61, v51, s6
	v_perm_b32 v48, v49, v48, s6
	v_pk_add_f16 v47, v47, v48 neg_lo:[0,1] neg_hi:[0,1]
	v_pk_fma_f16 v48, v39, s9, v67 op_sel_hi:[0,1,1]
	v_pk_add_f16 v65, v46, v47
	v_pk_fma_f16 v46, v38, s27, v82 op_sel_hi:[0,1,1]
	v_pk_add_f16 v46, v28, v46 op_sel_hi:[0,1]
	v_pk_fma_f16 v47, v39, s30, v83 op_sel_hi:[0,1,1]
	v_pk_add_f16 v46, v46, v47
	v_pk_fma_f16 v47, v40, s29, v84 op_sel_hi:[0,1,1]
	v_pk_add_f16 v46, v46, v47
	;; [unrolled: 2-line block ×7, first 2 shown]
	v_pk_fma_f16 v47, v38, s8, v66 op_sel_hi:[0,1,1]
	v_pk_fma_f16 v38, v38, s14, v72 op_sel_hi:[0,1,1]
	v_pk_add_f16 v47, v28, v47 op_sel_hi:[0,1]
	v_pk_add_f16 v28, v28, v38 op_sel_hi:[0,1]
	v_pk_fma_f16 v38, v39, s15, v73 op_sel_hi:[0,1,1]
	v_pk_add_f16 v47, v47, v48
	v_pk_fma_f16 v48, v40, s10, v68 op_sel_hi:[0,1,1]
	v_pk_add_f16 v28, v28, v38
	;; [unrolled: 2-line block ×13, first 2 shown]
	v_pk_add_f16 v28, v28, v38
	v_alignbit_b32 v40, v47, v47, 16
	v_alignbit_b32 v41, v28, v28, 16
	;; [unrolled: 1-line block ×3, first 2 shown]
	v_perm_b32 v38, v1, v90, s6
	ds_write_b128 v91, v[62:65] offset:2
	ds_write_b128 v91, v[38:41] offset:18
.LBB0_13:
	s_or_b64 exec, exec, s[2:3]
	v_add_f16_e32 v77, v7, v15
	s_mov_b32 s2, 0xbacdb8d2
	v_sub_f16_e32 v80, v5, v37
	v_sub_f16_e32 v64, v25, v33
	v_pk_mul_f16 v33, v77, s2 op_sel_hi:[0,1]
	s_mov_b32 s2, 0xb836ba62
	v_add_f16_e32 v73, v8, v16
	v_pk_mul_f16 v42, v80, s2 op_sel_hi:[0,1]
	s_mov_b32 s2, 0x3722b461
	v_mul_f16_e32 v78, 0xbbdd, v77
	v_mul_f16_e32 v79, 0xb1e1, v80
	v_sub_f16_e32 v76, v6, v36
	v_sub_f16_e32 v68, v24, v34
	v_pk_mul_f16 v34, v73, s2 op_sel_hi:[0,1]
	s_mov_b32 s2, 0x3b293bb2
	s_mov_b32 s6, 0xffff
	v_mul_f16_e32 v74, 0x3b76, v73
	v_mul_f16_e32 v75, 0x35c8, v76
	v_add_f16_e32 v69, v9, v17
	v_pk_mul_f16 v43, v76, s2 op_sel_hi:[0,1]
	s_mov_b32 s2, 0x2de83b76
	v_bfi_b32 v5, s6, v78, v33
	v_bfi_b32 v6, s6, v79, v42
	v_sub_f16_e32 v72, v23, v35
	v_pk_mul_f16 v35, v69, s2 op_sel_hi:[0,1]
	s_mov_b32 s2, 0xbbf7b5c8
	v_pk_add_f16 v5, v5, v6 neg_lo:[0,1] neg_hi:[0,1]
	v_bfi_b32 v6, s6, v74, v34
	v_bfi_b32 v23, s6, v75, v43
	v_mul_f16_e32 v70, 0xbacd, v69
	v_mul_f16_e32 v71, 0xb836, v72
	v_add_f16_e32 v65, v10, v18
	v_pk_mul_f16 v44, v72, s2 op_sel_hi:[0,1]
	s_mov_b32 s2, 0xb8d2bacd
	v_pk_add_f16 v5, v4, v5 op_sel_hi:[0,1]
	v_pk_add_f16 v6, v6, v23 neg_lo:[0,1] neg_hi:[0,1]
	v_pk_mul_f16 v36, v65, s2 op_sel_hi:[0,1]
	s_mov_b32 s2, 0x3a62b836
	v_pk_add_f16 v5, v5, v6
	v_bfi_b32 v6, s6, v70, v35
	v_bfi_b32 v23, s6, v71, v44
	v_mul_f16_e32 v66, 0x39e9, v65
	v_mul_f16_e32 v67, 0x3964, v68
	v_add_f16_e32 v61, v11, v19
	v_pk_mul_f16 v45, v68, s2 op_sel_hi:[0,1]
	s_mov_b32 s2, 0x3b762de8
	v_pk_add_f16 v6, v6, v23 neg_lo:[0,1] neg_hi:[0,1]
	v_pk_mul_f16 v37, v61, s2 op_sel_hi:[0,1]
	s_mov_b32 s2, 0xb5c83bf7
	v_pk_add_f16 v5, v5, v6
	v_bfi_b32 v6, s6, v66, v36
	v_bfi_b32 v23, s6, v67, v45
	v_mul_f16_e32 v62, 0xb8d2, v61
	v_mul_f16_e32 v63, 0xba62, v64
	v_add_f16_e32 v57, v12, v20
	v_pk_mul_f16 v46, v64, s2 op_sel_hi:[0,1]
	s_mov_b32 s2, 0xbbdd39e9
	v_pk_add_f16 v6, v6, v23 neg_lo:[0,1] neg_hi:[0,1]
	v_sub_f16_e32 v60, v26, v32
	v_pk_mul_f16 v38, v57, s2 op_sel_hi:[0,1]
	s_mov_b32 s2, 0xb1e1b964
	v_pk_add_f16 v5, v5, v6
	v_bfi_b32 v6, s6, v62, v37
	v_bfi_b32 v23, s6, v63, v46
	v_mul_f16_e32 v58, 0x3722, v57
	v_mul_f16_e32 v59, 0x3b29, v60
	v_add_f16_e32 v53, v13, v21
	v_pk_mul_f16 v47, v60, s2 op_sel_hi:[0,1]
	s_mov_b32 s2, 0x39e9bbdd
	v_pk_add_f16 v6, v6, v23 neg_lo:[0,1] neg_hi:[0,1]
	v_sub_f16_e32 v56, v27, v31
	v_pk_mul_f16 v39, v53, s2 op_sel_hi:[0,1]
	s_mov_b32 s2, 0x3964b1e1
	v_pk_add_f16 v5, v5, v6
	v_bfi_b32 v6, s6, v58, v38
	v_bfi_b32 v23, s6, v59, v47
	v_mul_f16_e32 v54, 0xb461, v53
	v_mul_f16_e32 v55, 0xbbb2, v56
	v_add_f16_e32 v51, v14, v22
	v_pk_mul_f16 v48, v56, s2 op_sel_hi:[0,1]
	s_mov_b32 s2, 0xb4613722
	v_pk_add_f16 v6, v6, v23 neg_lo:[0,1] neg_hi:[0,1]
	v_sub_f16_e32 v52, v29, v30
	v_pk_mul_f16 v40, v51, s2 op_sel_hi:[0,1]
	s_mov_b32 s2, 0xbbb23b29
	v_pk_add_f16 v5, v5, v6
	v_bfi_b32 v6, s6, v54, v39
	v_bfi_b32 v23, s6, v55, v48
	v_pk_mul_f16 v50, v52, s2 op_sel_hi:[0,1]
	v_mul_f16_e32 v41, 0x2de8, v51
	v_mul_f16_e32 v49, 0x3bf7, v52
	v_pk_add_f16 v6, v6, v23 neg_lo:[0,1] neg_hi:[0,1]
	v_bfi_b32 v23, s6, v49, v50
	v_pk_add_f16 v6, v5, v6
	v_bfi_b32 v5, s6, v41, v40
	v_pk_add_f16 v81, v5, v23 neg_lo:[0,1] neg_hi:[0,1]
	v_lshl_add_u32 v5, v0, 1, 0
	s_waitcnt lgkmcnt(0)
	s_barrier
	ds_read_u16 v23, v5
	ds_read_u16 v32, v5 offset:374
	ds_read_u16 v31, v5 offset:748
	;; [unrolled: 1-line block ×9, first 2 shown]
	v_pk_add_f16 v6, v6, v81
	s_waitcnt lgkmcnt(0)
	s_barrier
	s_and_saveexec_b64 s[2:3], s[0:1]
	s_cbranch_execz .LBB0_15
; %bb.14:
	v_add_f16_e32 v7, v4, v7
	v_add_f16_e32 v7, v7, v8
	;; [unrolled: 1-line block ×14, first 2 shown]
	s_mov_b32 s1, 0xb461
	v_mul_f16_e32 v10, 0xbbb2, v80
	v_add_f16_e32 v7, v16, v7
	v_fma_f16 v11, v77, s1, v10
	s_mov_b32 s7, 0xbacd
	v_mul_f16_e32 v14, 0x3836, v76
	v_add_f16_e32 v7, v15, v7
	v_add_f16_e32 v11, v4, v11
	;; [unrolled: 1-line block ×3, first 2 shown]
	v_fma_f16 v15, v73, s7, v14
	s_movk_i32 s8, 0x39e9
	v_mul_f16_e32 v16, 0x3964, v72
	v_add_f16_e32 v12, v4, v12
	v_add_f16_e32 v11, v11, v15
	;; [unrolled: 1-line block ×3, first 2 shown]
	v_fma_f16 v17, v69, s8, v16
	s_movk_i32 s9, 0x3722
	v_mul_f16_e32 v18, 0xbb29, v68
	v_add_f16_e32 v12, v12, v15
	v_add_f16_e32 v11, v11, v17
	;; [unrolled: 1-line block ×3, first 2 shown]
	v_fma_f16 v19, v65, s9, v18
	s_mov_b32 s10, 0xbbdd
	v_mul_f16_e32 v20, 0xb1e1, v64
	v_add_f16_e32 v12, v12, v17
	v_add_f16_e32 v11, v11, v19
	;; [unrolled: 1-line block ×3, first 2 shown]
	v_fma_f16 v21, v61, s10, v20
	v_add_f16_e32 v12, v12, v19
	v_add_f16_e32 v11, v11, v21
	;; [unrolled: 1-line block ×3, first 2 shown]
	s_movk_i32 s10, 0x2de8
	v_mul_f16_e32 v22, 0x3bf7, v60
	v_pack_b32_f16 v92, v57, v57
	v_add_f16_e32 v12, v12, v21
	v_mul_f16_e32 v21, 0x2de8, v57
	v_fma_f16 v57, v57, s10, v22
	v_pack_b32_f16 v95, v56, v56
	v_add_f16_e32 v11, v11, v57
	v_add_f16_e32 v57, v58, v59
	s_movk_i32 s11, 0x3b76
	v_mul_f16_e32 v56, 0xb5c8, v56
	v_pack_b32_f16 v94, v53, v53
	v_add_f16_e32 v12, v12, v57
	v_mul_f16_e32 v57, 0x3b76, v53
	v_fma_f16 v53, v53, s11, v56
	v_pack_b32_f16 v82, v80, v80
	v_add_f16_e32 v53, v11, v53
	v_add_f16_e32 v11, v54, v55
	s_mov_b32 s13, 0xb964b5c8
	v_pack_b32_f16 v81, v77, v77
	v_add_f16_e32 v12, v12, v11
	s_mov_b32 s12, 0x39e93b76
	v_pk_mul_f16 v11, v82, s13
	s_mov_b32 s0, 0x5040100
	v_pack_b32_f16 v85, v76, v76
	v_fma_f16 v54, v81, s11, -v11
	v_pk_fma_f16 v11, v81, s12, v11
	s_mov_b32 s12, 0xbbf7b964
	v_perm_b32 v83, v4, v4, s0
	v_pack_b32_f16 v84, v73, v73
	s_mov_b32 s11, 0x2de839e9
	v_pk_mul_f16 v55, v85, s12
	v_pack_b32_f16 v87, v72, v72
	v_pk_add_f16 v11, v83, v11
	v_fma_f16 v58, v84, s8, -v55
	v_pk_fma_f16 v55, v84, s11, v55
	s_mov_b32 s11, 0xba62bb29
	v_pack_b32_f16 v86, v69, v69
	v_add_f16_e32 v54, v4, v54
	v_pk_add_f16 v11, v11, v55
	s_mov_b32 s8, 0xb8d23722
	v_pk_mul_f16 v55, v87, s11
	v_pack_b32_f16 v89, v68, v68
	v_add_f16_e32 v54, v54, v58
	v_fma_f16 v58, v86, s9, -v55
	v_pk_fma_f16 v55, v86, s8, v55
	s_mov_b32 s9, 0xb1e1bbf7
	v_pack_b32_f16 v88, v65, v65
	v_pk_add_f16 v11, v11, v55
	s_mov_b32 s8, 0xbbdd2de8
	v_pk_mul_f16 v55, v89, s9
	v_pack_b32_f16 v91, v64, v64
	v_add_f16_e32 v54, v54, v58
	v_fma_f16 v58, v88, s10, -v55
	v_pk_fma_f16 v55, v88, s8, v55
	s_mov_b32 s9, 0x3836bbb2
	v_pack_b32_f16 v90, v61, v61
	v_pk_add_f16 v11, v11, v55
	s_mov_b32 s8, 0xbacdb461
	v_pk_mul_f16 v55, v91, s9
	v_pack_b32_f16 v93, v60, v60
	v_add_f16_e32 v54, v54, v58
	v_fma_f16 v58, v90, s1, -v55
	v_pk_fma_f16 v55, v90, s8, v55
	s_mov_b32 s8, 0x3bb2ba62
	v_pk_add_f16 v11, v11, v55
	s_mov_b32 s1, 0xb461b8d2
	v_pk_mul_f16 v55, v93, s8
	s_mov_b32 s8, 0xb8d2
	v_add_f16_e32 v54, v54, v58
	v_fma_f16 v58, v92, s8, -v55
	v_pk_fma_f16 v55, v92, s1, v55
	s_mov_b32 s9, 0x3b29b836
	v_pk_add_f16 v11, v11, v55
	s_mov_b32 s1, 0x3722bacd
	v_pk_mul_f16 v55, v95, s9
	v_pack_b32_f16 v96, v51, v51
	v_pack_b32_f16 v8, v52, v52
	v_add_f16_e32 v54, v54, v58
	v_fma_f16 v58, v94, s7, -v55
	v_pk_fma_f16 v55, v94, s1, v55
	s_mov_b32 s1, 0x3b76bbdd
	s_mov_b32 s7, 0x35c8b1e1
	v_add_f16_e32 v54, v54, v58
	v_pk_add_f16 v11, v11, v55
	v_pk_mul_f16 v55, v96, s1
	v_pk_mul_f16 v58, v8, s7
	s_mov_b32 s7, 0xbbf7bb29
	v_pk_fma_f16 v59, v96, s1, v58
	v_sub_f16_e32 v55, v55, v58
	v_add_f16_e32 v54, v54, v55
	v_pk_add_f16 v55, v11, v59
	s_mov_b32 s1, 0x2de83722
	v_pk_mul_f16 v59, v82, s7
	s_mov_b32 s7, 0xb1e1ba62
	v_mul_f16_e32 v19, 0xbbdd, v61
	v_pk_mul_f16 v58, v81, s1
	v_pk_fma_f16 v11, v81, s1, v59
	s_mov_b32 s1, 0xbbddb8d2
	v_pk_mul_f16 v61, v85, s7
	s_mov_b32 s7, 0x3bb231e1
	v_pk_add_f16 v11, v83, v11
	v_pk_mul_f16 v60, v84, s1
	v_pk_fma_f16 v62, v84, s1, v61
	s_mov_b32 s1, 0xb461bbdd
	v_pk_mul_f16 v63, v87, s7
	s_mov_b32 s7, 0x35c83bb2
	v_mul_f16_e32 v17, 0x3722, v65
	v_pk_add_f16 v11, v11, v62
	v_pk_mul_f16 v62, v86, s1
	v_pk_fma_f16 v64, v86, s1, v63
	s_mov_b32 s1, 0x3b76b461
	v_pk_mul_f16 v65, v89, s7
	s_mov_b32 s7, 0xbb293964
	v_pk_add_f16 v11, v11, v64
	v_pk_mul_f16 v64, v88, s1
	v_pk_fma_f16 v66, v88, s1, v65
	s_mov_b32 s1, 0x372239e9
	v_pk_mul_f16 v67, v91, s7
	s_mov_b32 s7, 0xb836b5c8
	v_mul_f16_e32 v15, 0x39e9, v69
	v_pk_add_f16 v11, v11, v66
	v_pk_mul_f16 v66, v90, s1
	v_pk_fma_f16 v68, v90, s1, v67
	s_mov_b32 s1, 0xbacd3b76
	v_pk_mul_f16 v69, v93, s7
	s_mov_b32 s7, 0x3a62bbf7
	v_pk_add_f16 v11, v11, v68
	v_pk_mul_f16 v68, v92, s1
	v_pk_fma_f16 v70, v92, s1, v69
	s_mov_b32 s1, 0xb8d22de8
	v_pk_mul_f16 v71, v95, s7
	s_mov_b32 s7, 0x3964b836
	;; [unrolled: 6-line block ×3, first 2 shown]
	v_mul_f16_e32 v13, 0xbacd, v73
	v_pk_add_f16 v72, v11, v72
	v_pk_mul_f16 v73, v96, s1
	v_pk_fma_f16 v75, v96, s1, v74
	s_mov_b32 s1, 0x39e93722
	v_pk_mul_f16 v11, v82, s7
	s_mov_b32 s7, 0x3bf73a62
	v_mul_f16_e32 v9, 0xb461, v77
	v_pk_fma_f16 v11, v81, s1, v11
	s_mov_b32 s1, 0x2de8b8d2
	v_pk_mul_f16 v76, v85, s7
	v_pk_add_f16 v11, v83, v11
	v_pk_fma_f16 v76, v84, s1, v76
	s_mov_b32 s7, 0x3a62b1e1
	v_bfi_b32 v9, s6, v9, v58
	v_bfi_b32 v10, s6, v10, v59
	v_pk_add_f16 v11, v11, v76
	s_mov_b32 s1, 0xb8d2bbdd
	v_pk_mul_f16 v76, v87, s7
	v_pk_add_f16 v9, v9, v10 neg_lo:[0,1] neg_hi:[0,1]
	v_bfi_b32 v10, s6, v13, v60
	v_bfi_b32 v13, s6, v14, v61
	v_pk_fma_f16 v76, v86, s1, v76
	s_mov_b32 s7, 0x31e1bbb2
	v_pk_add_f16 v9, v83, v9
	v_pk_add_f16 v10, v10, v13 neg_lo:[0,1] neg_hi:[0,1]
	v_pk_add_f16 v11, v11, v76
	s_mov_b32 s1, 0xbbddb461
	v_pk_mul_f16 v76, v89, s7
	v_pk_add_f16 v9, v9, v10
	v_bfi_b32 v10, s6, v15, v62
	v_bfi_b32 v13, s6, v16, v63
	v_pk_fma_f16 v76, v88, s1, v76
	s_mov_b32 s7, 0xb836b964
	v_pk_add_f16 v10, v10, v13 neg_lo:[0,1] neg_hi:[0,1]
	v_pk_add_f16 v11, v11, v76
	s_mov_b32 s1, 0xbacd39e9
	v_pk_mul_f16 v76, v91, s7
	v_pk_add_f16 v9, v9, v10
	v_bfi_b32 v10, s6, v17, v64
	v_bfi_b32 v13, s6, v18, v65
	v_pk_fma_f16 v76, v90, s1, v76
	s_mov_b32 s7, 0xbbb235c8
	v_pk_add_f16 v10, v10, v13 neg_lo:[0,1] neg_hi:[0,1]
	v_pk_add_f16 v11, v11, v76
	s_mov_b32 s1, 0xb4613b76
	v_pk_mul_f16 v76, v93, s7
	v_pk_add_f16 v9, v9, v10
	v_bfi_b32 v10, s6, v19, v66
	v_bfi_b32 v13, s6, v20, v67
	v_pk_fma_f16 v76, v92, s1, v76
	s_mov_b32 s7, 0xbb293bf7
	v_pk_add_f16 v10, v10, v13 neg_lo:[0,1] neg_hi:[0,1]
	v_pk_add_f16 v11, v11, v76
	s_mov_b32 s1, 0x37222de8
	v_pk_mul_f16 v76, v95, s7
	s_mov_b32 s7, 0xb5c83836
	v_pk_add_f16 v9, v9, v10
	v_bfi_b32 v10, s6, v21, v68
	v_bfi_b32 v13, s6, v22, v69
	v_pk_fma_f16 v76, v94, s1, v76
	s_mov_b32 s1, 0x3b76bacd
	v_pk_mul_f16 v8, v8, s7
	v_pk_add_f16 v10, v10, v13 neg_lo:[0,1] neg_hi:[0,1]
	v_pk_add_f16 v11, v11, v76
	v_pk_fma_f16 v8, v96, s1, v8
	v_pk_add_f16 v9, v9, v10
	v_bfi_b32 v10, s6, v57, v70
	v_bfi_b32 v13, s6, v56, v71
	v_pk_add_f16 v11, v11, v8
	v_pk_add_f16 v8, v72, v75
	v_mul_f16_e32 v72, 0xb8d2, v51
	v_mul_f16_e32 v52, 0xba62, v52
	v_pk_add_f16 v10, v10, v13 neg_lo:[0,1] neg_hi:[0,1]
	v_bfi_b32 v13, s6, v52, v74
	v_pk_add_f16 v9, v9, v10
	v_bfi_b32 v10, s6, v72, v73
	v_pk_add_f16 v10, v10, v13 neg_lo:[0,1] neg_hi:[0,1]
	v_sub_f16_e32 v13, v34, v43
	v_pk_add_f16 v10, v9, v10
	v_sub_f16_e32 v9, v33, v42
	v_add_f16_e32 v4, v4, v9
	v_pk_add_f16 v9, v33, v42
	v_add_f16_e32 v4, v4, v13
	v_pk_add_f16 v9, v83, v9
	v_pk_add_f16 v13, v34, v43
	v_fma_f16 v51, v51, s8, v52
	v_pk_add_f16 v9, v9, v13
	v_sub_f16_e32 v13, v35, v44
	v_add_f16_e32 v4, v4, v13
	v_pk_add_f16 v13, v35, v44
	v_sub_f16_e32 v14, v40, v50
	v_pk_add_f16 v9, v9, v13
	v_sub_f16_e32 v13, v36, v45
	v_add_f16_e32 v4, v4, v13
	v_pk_add_f16 v13, v36, v45
	v_add_f16_e32 v51, v53, v51
	v_pk_add_f16 v9, v9, v13
	v_sub_f16_e32 v13, v37, v46
	v_add_f16_e32 v4, v4, v13
	v_pk_add_f16 v13, v37, v46
	v_lshl_add_u32 v16, v0, 5, v5
	v_pk_add_f16 v9, v9, v13
	v_sub_f16_e32 v13, v38, v47
	v_add_f16_e32 v4, v4, v13
	v_pk_add_f16 v13, v38, v47
	s_nop 0
	v_pk_add_f16 v9, v9, v13
	v_sub_f16_e32 v13, v39, v48
	v_add_f16_e32 v4, v4, v13
	v_pk_add_f16 v13, v39, v48
	v_add_f16_e32 v4, v4, v14
	v_pk_add_f16 v9, v9, v13
	v_pk_add_f16 v13, v40, v50
	v_alignbit_b32 v14, v51, v8, 16
	v_pk_add_f16 v15, v9, v13
	v_add_f16_e32 v9, v41, v49
	v_add_f16_e32 v9, v12, v9
	v_alignbit_b32 v13, v8, v55, 16
	v_pack_b32_f16 v12, v7, v55
	v_perm_b32 v8, v6, v9, s0
	v_alignbit_b32 v9, v4, v6, 16
	ds_write_b128 v16, v[12:15]
	ds_write_b128 v16, v[8:11] offset:16
	ds_write_b16 v16, v54 offset:32
.LBB0_15:
	s_or_b64 exec, exec, s[2:3]
	s_movk_i32 s0, 0xf1
	v_mul_lo_u16_sdwa v4, v0, s0 dst_sel:DWORD dst_unused:UNUSED_PAD src0_sel:BYTE_0 src1_sel:DWORD
	v_lshrrev_b16_e32 v38, 12, v4
	v_mul_lo_u16_e32 v4, 17, v38
	v_sub_u16_e32 v39, v0, v4
	v_mov_b32_e32 v4, 9
	v_mul_u32_u24_sdwa v4, v39, v4 dst_sel:DWORD dst_unused:UNUSED_PAD src0_sel:BYTE_0 src1_sel:DWORD
	v_lshlrev_b32_e32 v4, 2, v4
	s_waitcnt lgkmcnt(0)
	s_barrier
	global_load_dwordx4 v[8:11], v4, s[4:5]
	global_load_dwordx4 v[12:15], v4, s[4:5] offset:16
	global_load_dword v16, v4, s[4:5] offset:32
	ds_read_u16 v7, v5
	ds_read_u16 v4, v5 offset:374
	ds_read_u16 v18, v5 offset:748
	;; [unrolled: 1-line block ×9, first 2 shown]
	s_movk_i32 s10, 0x3b9c
	s_mov_b32 s7, 0xbb9c
	s_mov_b32 s6, 0xb8b4
	s_movk_i32 s8, 0x34f2
	s_movk_i32 s9, 0x38b4
	;; [unrolled: 1-line block ×3, first 2 shown]
	v_mul_u32_u24_e32 v38, 0x154, v38
	s_movk_i32 s0, 0xaa
	v_cmp_gt_u32_e64 s[0:1], s0, v0
	s_waitcnt lgkmcnt(0)
	s_barrier
	s_waitcnt vmcnt(2)
	v_mul_f16_sdwa v17, v4, v8 dst_sel:DWORD dst_unused:UNUSED_PAD src0_sel:DWORD src1_sel:WORD_1
	v_mul_f16_sdwa v20, v32, v8 dst_sel:DWORD dst_unused:UNUSED_PAD src0_sel:DWORD src1_sel:WORD_1
	;; [unrolled: 1-line block ×3, first 2 shown]
	s_waitcnt vmcnt(1)
	v_mul_f16_sdwa v45, v33, v12 dst_sel:DWORD dst_unused:UNUSED_PAD src0_sel:DWORD src1_sel:WORD_1
	v_mul_f16_sdwa v47, v34, v13 dst_sel:DWORD dst_unused:UNUSED_PAD src0_sel:DWORD src1_sel:WORD_1
	v_mul_f16_sdwa v22, v18, v9 dst_sel:DWORD dst_unused:UNUSED_PAD src0_sel:DWORD src1_sel:WORD_1
	v_mul_f16_sdwa v40, v31, v9 dst_sel:DWORD dst_unused:UNUSED_PAD src0_sel:DWORD src1_sel:WORD_1
	v_mul_f16_sdwa v42, v30, v10 dst_sel:DWORD dst_unused:UNUSED_PAD src0_sel:DWORD src1_sel:WORD_1
	v_mul_f16_sdwa v44, v29, v11 dst_sel:DWORD dst_unused:UNUSED_PAD src0_sel:DWORD src1_sel:WORD_1
	v_mul_f16_sdwa v46, v28, v12 dst_sel:DWORD dst_unused:UNUSED_PAD src0_sel:DWORD src1_sel:WORD_1
	v_mul_f16_sdwa v49, v35, v14 dst_sel:DWORD dst_unused:UNUSED_PAD src0_sel:DWORD src1_sel:WORD_1
	v_mul_f16_sdwa v51, v36, v15 dst_sel:DWORD dst_unused:UNUSED_PAD src0_sel:DWORD src1_sel:WORD_1
	v_mul_f16_sdwa v52, v25, v15 dst_sel:DWORD dst_unused:UNUSED_PAD src0_sel:DWORD src1_sel:WORD_1
	v_fma_f16 v32, v32, v8, -v17
	v_fma_f16 v17, v4, v8, v20
	v_fma_f16 v29, v29, v11, -v43
	v_fma_f16 v8, v28, v12, -v45
	;; [unrolled: 1-line block ×3, first 2 shown]
	v_mul_f16_sdwa v41, v19, v10 dst_sel:DWORD dst_unused:UNUSED_PAD src0_sel:DWORD src1_sel:WORD_1
	v_mul_f16_sdwa v48, v27, v13 dst_sel:DWORD dst_unused:UNUSED_PAD src0_sel:DWORD src1_sel:WORD_1
	;; [unrolled: 1-line block ×3, first 2 shown]
	s_waitcnt vmcnt(0)
	v_mul_f16_sdwa v53, v37, v16 dst_sel:DWORD dst_unused:UNUSED_PAD src0_sel:DWORD src1_sel:WORD_1
	v_mul_f16_sdwa v54, v24, v16 dst_sel:DWORD dst_unused:UNUSED_PAD src0_sel:DWORD src1_sel:WORD_1
	v_fma_f16 v31, v31, v9, -v22
	v_fma_f16 v20, v18, v9, v40
	v_fma_f16 v18, v19, v10, v42
	;; [unrolled: 1-line block ×3, first 2 shown]
	v_fma_f16 v9, v26, v14, -v49
	v_fma_f16 v26, v25, v15, -v51
	v_fma_f16 v25, v36, v15, v52
	v_add_f16_e32 v12, v29, v28
	v_fma_f16 v4, v30, v10, -v41
	v_fma_f16 v22, v21, v11, v44
	v_fma_f16 v27, v34, v13, v48
	v_fma_f16 v10, v24, v16, -v53
	v_fma_f16 v24, v37, v16, v54
	v_sub_f16_e32 v13, v20, v25
	v_sub_f16_e32 v15, v31, v29
	;; [unrolled: 1-line block ×3, first 2 shown]
	v_add_f16_e32 v30, v31, v26
	v_fma_f16 v12, v12, -0.5, v23
	v_fma_f16 v21, v35, v14, v50
	v_sub_f16_e32 v14, v22, v27
	v_add_f16_e32 v15, v15, v16
	v_fma_f16 v16, v30, -0.5, v23
	v_fma_f16 v30, v13, s10, v12
	v_fma_f16 v12, v13, s7, v12
	v_sub_f16_e32 v33, v29, v31
	v_sub_f16_e32 v34, v28, v26
	v_add_f16_e32 v35, v32, v4
	v_fma_f16 v12, v14, s6, v12
	v_add_f16_e32 v11, v23, v31
	v_add_f16_e32 v23, v33, v34
	v_fma_f16 v33, v14, s7, v16
	v_fma_f16 v16, v14, s10, v16
	;; [unrolled: 1-line block ×3, first 2 shown]
	v_add_f16_e32 v12, v35, v8
	v_fma_f16 v30, v14, s9, v30
	v_fma_f16 v14, v13, s9, v33
	;; [unrolled: 1-line block ×3, first 2 shown]
	v_add_f16_e32 v12, v12, v9
	v_fma_f16 v16, v15, s8, v30
	v_fma_f16 v15, v23, s8, v13
	v_add_f16_e32 v13, v12, v10
	v_add_f16_e32 v12, v8, v9
	v_fma_f16 v12, v12, -0.5, v32
	v_sub_f16_e32 v34, v18, v24
	v_fma_f16 v14, v23, s8, v14
	v_fma_f16 v23, v34, s10, v12
	v_sub_f16_e32 v35, v19, v21
	v_sub_f16_e32 v30, v4, v8
	;; [unrolled: 1-line block ×3, first 2 shown]
	v_fma_f16 v12, v34, s7, v12
	v_fma_f16 v23, v35, s9, v23
	v_add_f16_e32 v33, v30, v33
	v_fma_f16 v12, v35, s6, v12
	v_fma_f16 v30, v33, s8, v23
	v_fma_f16 v23, v33, s8, v12
	v_add_f16_e32 v12, v4, v10
	v_fma_f16 v12, v12, -0.5, v32
	v_fma_f16 v32, v35, s7, v12
	v_sub_f16_e32 v33, v8, v4
	v_sub_f16_e32 v36, v9, v10
	v_fma_f16 v12, v35, s10, v12
	v_fma_f16 v32, v34, s9, v32
	v_add_f16_e32 v36, v33, v36
	v_fma_f16 v12, v34, s6, v12
	v_fma_f16 v33, v36, s8, v32
	;; [unrolled: 1-line block ×3, first 2 shown]
	v_add_f16_e32 v12, v19, v21
	v_fma_f16 v12, v12, -0.5, v17
	v_sub_f16_e32 v4, v4, v10
	v_fma_f16 v10, v4, s7, v12
	v_sub_f16_e32 v8, v8, v9
	v_fma_f16 v9, v8, s6, v10
	v_sub_f16_e32 v10, v18, v19
	v_sub_f16_e32 v34, v24, v21
	v_add_f16_e32 v10, v10, v34
	v_fma_f16 v35, v10, s8, v9
	v_fma_f16 v9, v4, s10, v12
	;; [unrolled: 1-line block ×4, first 2 shown]
	v_add_f16_e32 v9, v18, v24
	v_fma_f16 v9, v9, -0.5, v17
	v_fma_f16 v10, v8, s10, v9
	v_sub_f16_e32 v12, v19, v18
	v_sub_f16_e32 v36, v21, v24
	v_fma_f16 v8, v8, s7, v9
	v_add_f16_e32 v11, v11, v29
	v_fma_f16 v10, v4, s6, v10
	v_add_f16_e32 v12, v12, v36
	;; [unrolled: 2-line block ×3, first 2 shown]
	v_fma_f16 v36, v12, s8, v10
	v_fma_f16 v37, v12, s8, v4
	v_mul_f16_e32 v8, 0x38b4, v35
	v_mul_f16_e32 v12, 0x3a79, v23
	v_add_f16_e32 v11, v11, v26
	v_fma_f16 v41, v30, s11, v8
	v_fma_f16 v44, v34, s9, -v12
	v_add_f16_e32 v4, v11, v13
	v_add_f16_e32 v8, v16, v41
	v_mul_f16_e32 v9, 0x3b9c, v36
	v_mul_f16_e32 v10, 0x34f2, v32
	v_add_f16_e32 v12, v40, v44
	v_sub_f16_e32 v11, v11, v13
	v_sub_f16_e32 v13, v16, v41
	;; [unrolled: 1-line block ×3, first 2 shown]
	v_mov_b32_e32 v40, 1
	v_fma_f16 v42, v33, s8, v9
	v_fma_f16 v43, v37, s10, -v10
	v_lshlrev_b32_sdwa v39, v40, v39 dst_sel:DWORD dst_unused:UNUSED_PAD src0_sel:DWORD src1_sel:BYTE_0
	v_add_f16_e32 v9, v14, v42
	v_add_f16_e32 v10, v15, v43
	v_sub_f16_e32 v14, v14, v42
	v_sub_f16_e32 v15, v15, v43
	v_add3_u32 v38, 0, v38, v39
	ds_write_b16 v38, v4
	ds_write_b16 v38, v8 offset:34
	ds_write_b16 v38, v9 offset:68
	;; [unrolled: 1-line block ×9, first 2 shown]
	s_waitcnt lgkmcnt(0)
	s_barrier
	s_and_saveexec_b64 s[2:3], s[0:1]
	s_cbranch_execz .LBB0_17
; %bb.16:
	ds_read_u16 v4, v5
	ds_read_u16 v8, v5 offset:340
	ds_read_u16 v9, v5 offset:680
	;; [unrolled: 1-line block ×10, first 2 shown]
.LBB0_17:
	s_or_b64 exec, exec, s[2:3]
	v_add_f16_e32 v40, v22, v27
	v_fma_f16 v40, v40, -0.5, v7
	v_sub_f16_e32 v26, v31, v26
	v_fma_f16 v31, v26, s7, v40
	v_sub_f16_e32 v28, v29, v28
	v_fma_f16 v29, v28, s6, v31
	v_sub_f16_e32 v31, v20, v22
	v_sub_f16_e32 v41, v25, v27
	v_fma_f16 v40, v26, s10, v40
	v_add_f16_e32 v31, v31, v41
	v_fma_f16 v40, v28, s9, v40
	v_fma_f16 v29, v31, s8, v29
	;; [unrolled: 1-line block ×3, first 2 shown]
	v_add_f16_e32 v40, v20, v25
	v_add_f16_e32 v39, v7, v20
	v_fma_f16 v7, v40, -0.5, v7
	v_add_f16_e32 v39, v39, v22
	v_fma_f16 v40, v28, s10, v7
	v_sub_f16_e32 v20, v22, v20
	v_sub_f16_e32 v22, v27, v25
	v_fma_f16 v7, v28, s7, v7
	v_add_f16_e32 v20, v20, v22
	v_fma_f16 v7, v26, s9, v7
	v_fma_f16 v40, v26, s6, v40
	;; [unrolled: 1-line block ×3, first 2 shown]
	v_add_f16_e32 v7, v17, v18
	v_add_f16_e32 v7, v7, v19
	;; [unrolled: 1-line block ×3, first 2 shown]
	v_mul_f16_e32 v19, 0xbb9c, v33
	v_add_f16_e32 v17, v7, v24
	v_fma_f16 v24, v36, s8, v19
	v_mul_f16_e32 v19, 0x34f2, v37
	v_add_f16_e32 v39, v39, v27
	v_mul_f16_e32 v18, 0xb8b4, v30
	v_fma_f16 v27, v32, s7, -v19
	v_mul_f16_e32 v19, 0x3a79, v34
	v_add_f16_e32 v39, v39, v25
	v_fma_f16 v25, v20, s8, v40
	v_fma_f16 v18, v35, s11, v18
	v_fma_f16 v28, v23, s6, -v19
	v_add_f16_e32 v7, v39, v17
	v_add_f16_e32 v22, v29, v18
	;; [unrolled: 1-line block ×5, first 2 shown]
	v_sub_f16_e32 v17, v39, v17
	v_sub_f16_e32 v18, v29, v18
	;; [unrolled: 1-line block ×5, first 2 shown]
	v_lshrrev_b32_e32 v6, 16, v6
	s_waitcnt lgkmcnt(0)
	s_barrier
	ds_write_b16 v38, v7
	ds_write_b16 v38, v22 offset:34
	ds_write_b16 v38, v21 offset:68
	;; [unrolled: 1-line block ×9, first 2 shown]
	s_waitcnt lgkmcnt(0)
	s_barrier
	s_and_saveexec_b64 s[2:3], s[0:1]
	s_cbranch_execnz .LBB0_20
; %bb.18:
	s_or_b64 exec, exec, s[2:3]
	s_and_b64 s[0:1], vcc, s[0:1]
	s_and_saveexec_b64 s[2:3], s[0:1]
	s_cbranch_execnz .LBB0_21
.LBB0_19:
	s_endpgm
.LBB0_20:
	ds_read_u16 v7, v5
	ds_read_u16 v22, v5 offset:340
	ds_read_u16 v21, v5 offset:680
	;; [unrolled: 1-line block ×10, first 2 shown]
	s_or_b64 exec, exec, s[2:3]
	s_and_b64 s[0:1], vcc, s[0:1]
	s_and_saveexec_b64 s[2:3], s[0:1]
	s_cbranch_execz .LBB0_19
.LBB0_21:
	v_mul_u32_u24_e32 v5, 10, v0
	v_lshlrev_b32_e32 v5, 2, v5
	global_load_dwordx2 v[34:35], v5, s[4:5] offset:644
	global_load_dwordx4 v[26:29], v5, s[4:5] offset:612
	global_load_dwordx4 v[30:33], v5, s[4:5] offset:628
	s_movk_i32 s6, 0x3beb
	s_mov_b32 s5, 0xb482
	s_mov_b32 s7, 0xbb47
	s_movk_i32 s8, 0x3853
	s_movk_i32 s9, 0x3a0c
	s_mov_b32 s1, 0xb08e
	s_mov_b32 s0, 0xbbad
	s_movk_i32 s2, 0x36a6
	;; [unrolled: 4-line block ×3, first 2 shown]
	s_movk_i32 s12, 0x3b47
	s_mov_b32 s13, 0xb853
	s_mov_b32 s14, 0xba0c
	s_waitcnt vmcnt(2)
	v_lshrrev_b32_e32 v36, 16, v35
	s_waitcnt lgkmcnt(0)
	v_mul_f16_e32 v37, v6, v35
	s_waitcnt vmcnt(1)
	v_lshrrev_b32_e32 v38, 16, v26
	v_mul_f16_e32 v42, v22, v26
	v_lshrrev_b32_e32 v5, 16, v34
	v_lshrrev_b32_e32 v39, 16, v27
	v_mul_f16_e32 v43, v25, v34
	v_mul_f16_e32 v44, v21, v27
	s_waitcnt vmcnt(0)
	v_lshrrev_b32_e32 v45, 16, v30
	v_lshrrev_b32_e32 v46, 16, v31
	v_mul_f16_e32 v54, v17, v30
	v_fma_f16 v37, v1, v36, v37
	v_fma_f16 v42, v8, v38, v42
	v_mul_f16_e32 v22, v22, v38
	v_mul_f16_e32 v6, v6, v36
	v_lshrrev_b32_e32 v40, 16, v28
	v_lshrrev_b32_e32 v41, 16, v29
	;; [unrolled: 1-line block ×4, first 2 shown]
	v_mul_f16_e32 v49, v24, v33
	v_mul_f16_e32 v50, v20, v28
	v_mul_f16_e32 v52, v19, v29
	v_mul_f16_e32 v53, v18, v31
	v_fma_f16 v36, v16, v5, v43
	v_fma_f16 v38, v9, v39, v44
	v_mul_f16_e32 v21, v21, v39
	v_mul_f16_e32 v5, v25, v5
	v_fma_f16 v44, v11, v45, v54
	v_mul_f16_e32 v17, v17, v45
	v_mul_f16_e32 v18, v18, v46
	v_add_f16_e32 v45, v37, v42
	v_fma_f16 v8, v8, v26, -v22
	v_fma_f16 v1, v1, v35, -v6
	v_mul_f16_e32 v51, v23, v32
	v_fma_f16 v25, v15, v48, v49
	v_fma_f16 v39, v10, v40, v50
	v_mul_f16_e32 v20, v20, v40
	v_mul_f16_e32 v24, v24, v48
	v_fma_f16 v43, v12, v41, v52
	v_mul_f16_e32 v19, v19, v41
	v_mul_f16_e32 v23, v23, v47
	v_fma_f16 v41, v13, v46, v53
	v_add_f16_e32 v6, v36, v38
	v_fma_f16 v9, v9, v27, -v21
	v_fma_f16 v5, v16, v34, -v5
	v_fma_f16 v13, v13, v31, -v18
	v_mul_f16_e32 v18, 0xb08e, v45
	v_sub_f16_e32 v21, v8, v1
	v_fma_f16 v40, v14, v47, v51
	v_add_f16_e32 v16, v25, v39
	v_fma_f16 v10, v10, v28, -v20
	v_fma_f16 v15, v15, v33, -v24
	;; [unrolled: 1-line block ×3, first 2 shown]
	v_mul_f16_e32 v22, 0xbbad, v6
	v_sub_f16_e32 v23, v9, v5
	v_fma_f16 v32, v21, s6, v18
	v_add_f16_e32 v20, v40, v43
	v_fma_f16 v12, v12, v29, -v19
	v_mul_f16_e32 v24, 0x36a6, v16
	v_sub_f16_e32 v26, v10, v15
	v_fma_f16 v33, v23, s5, v22
	v_add_f16_e32 v32, v7, v32
	v_add_f16_e32 v19, v41, v44
	v_fma_f16 v11, v11, v30, -v17
	v_mul_f16_e32 v27, 0x3abb, v20
	v_sub_f16_e32 v28, v12, v14
	v_fma_f16 v34, v26, s7, v24
	v_add_f16_e32 v32, v32, v33
	v_mul_f16_e32 v29, 0xb93d, v19
	v_sub_f16_e32 v30, v11, v13
	v_fma_f16 v35, v28, s8, v27
	v_add_f16_e32 v32, v32, v34
	v_sub_f16_e32 v17, v42, v37
	v_fma_f16 v46, v30, s9, v29
	v_add_f16_e32 v32, v32, v35
	v_add_f16_e32 v31, v1, v8
	v_add_f16_e32 v32, v32, v46
	v_mul_f16_e32 v33, 0xbbeb, v17
	v_sub_f16_e32 v46, v38, v36
	v_fma_f16 v34, v31, s1, v33
	v_add_f16_e32 v35, v5, v9
	v_mul_f16_e32 v47, 0x3482, v46
	v_add_f16_e32 v34, v4, v34
	v_fma_f16 v48, v35, s0, v47
	v_sub_f16_e32 v49, v39, v25
	v_add_f16_e32 v34, v34, v48
	v_add_f16_e32 v48, v15, v10
	v_mul_f16_e32 v50, 0x3b47, v49
	v_fma_f16 v51, v48, s2, v50
	v_sub_f16_e32 v52, v43, v40
	v_add_f16_e32 v34, v34, v51
	v_add_f16_e32 v51, v14, v12
	v_mul_f16_e32 v53, 0xb853, v52
	;; [unrolled: 5-line block ×3, first 2 shown]
	v_fma_f16 v18, v21, s10, v18
	v_add_f16_e32 v8, v4, v8
	v_fma_f16 v57, v54, s4, v56
	v_add_f16_e32 v18, v7, v18
	;; [unrolled: 2-line block ×3, first 2 shown]
	v_add_f16_e32 v34, v34, v57
	v_mul_f16_e32 v57, 0xb93d, v45
	v_add_f16_e32 v18, v18, v22
	v_fma_f16 v22, v26, s12, v24
	v_add_f16_e32 v8, v8, v10
	v_fma_f16 v58, v21, s9, v57
	v_mul_f16_e32 v59, 0xb08e, v6
	v_add_f16_e32 v18, v18, v22
	v_fma_f16 v22, v28, s13, v27
	v_add_f16_e32 v8, v8, v12
	v_add_f16_e32 v58, v7, v58
	v_fma_f16 v60, v23, s10, v59
	v_add_f16_e32 v18, v18, v22
	v_fma_f16 v22, v30, s14, v29
	v_add_f16_e32 v8, v8, v11
	v_add_f16_e32 v58, v58, v60
	v_mul_f16_e32 v60, 0x3abb, v16
	v_add_f16_e32 v18, v18, v22
	v_fma_f16 v22, v31, s1, -v33
	v_add_f16_e32 v8, v13, v8
	v_fma_f16 v61, v26, s8, v60
	v_add_f16_e32 v22, v4, v22
	v_fma_f16 v24, v35, s0, -v47
	v_add_f16_e32 v8, v14, v8
	v_add_f16_e32 v58, v58, v61
	v_mul_f16_e32 v61, 0xbbad, v20
	v_add_f16_e32 v22, v22, v24
	v_fma_f16 v24, v48, s2, -v50
	v_add_f16_e32 v8, v15, v8
	v_fma_f16 v62, v28, s11, v61
	v_add_f16_e32 v22, v22, v24
	v_fma_f16 v24, v51, s3, -v53
	v_add_f16_e32 v5, v5, v8
	v_add_f16_e32 v58, v58, v62
	v_mul_f16_e32 v62, 0x36a6, v19
	v_add_f16_e32 v22, v22, v24
	v_fma_f16 v24, v54, s4, -v56
	v_add_f16_e32 v5, v1, v5
	v_add_f16_e32 v1, v7, v42
	v_fma_f16 v63, v30, s7, v62
	v_fma_f16 v57, v21, s14, v57
	v_add_f16_e32 v22, v22, v24
	v_mul_f16_e32 v24, 0xbb47, v21
	v_add_f16_e32 v1, v1, v38
	v_add_f16_e32 v58, v58, v63
	v_mul_f16_e32 v63, 0xba0c, v17
	v_add_f16_e32 v57, v7, v57
	v_fma_f16 v59, v23, s6, v59
	v_fma_f16 v27, v45, s2, v24
	v_mul_f16_e32 v29, 0xba0c, v23
	v_add_f16_e32 v1, v1, v39
	v_fma_f16 v64, v31, s4, v63
	v_mul_f16_e32 v65, 0x3beb, v46
	v_add_f16_e32 v57, v57, v59
	v_fma_f16 v59, v26, s13, v60
	v_add_f16_e32 v27, v7, v27
	v_fma_f16 v33, v6, s4, v29
	v_add_f16_e32 v1, v1, v43
	v_add_f16_e32 v64, v4, v64
	v_fma_f16 v66, v35, s1, v65
	v_add_f16_e32 v57, v57, v59
	v_fma_f16 v59, v28, s5, v61
	v_add_f16_e32 v27, v27, v33
	v_mul_f16_e32 v33, 0x3482, v26
	v_add_f16_e32 v1, v1, v44
	v_add_f16_e32 v64, v64, v66
	v_mul_f16_e32 v66, 0xb853, v49
	v_add_f16_e32 v57, v57, v59
	v_fma_f16 v59, v30, s12, v62
	v_fma_f16 v47, v16, s0, v33
	v_add_f16_e32 v1, v41, v1
	v_fma_f16 v67, v48, s3, v66
	v_add_f16_e32 v57, v57, v59
	v_fma_f16 v59, v31, s4, -v63
	v_add_f16_e32 v27, v27, v47
	v_mul_f16_e32 v47, 0x3beb, v28
	v_add_f16_e32 v1, v40, v1
	v_add_f16_e32 v64, v64, v67
	v_mul_f16_e32 v67, 0xb482, v52
	v_add_f16_e32 v59, v4, v59
	v_fma_f16 v60, v35, s1, -v65
	v_fma_f16 v50, v20, s1, v47
	v_add_f16_e32 v1, v25, v1
	v_fma_f16 v68, v51, s0, v67
	v_add_f16_e32 v59, v59, v60
	v_fma_f16 v60, v48, s3, -v66
	v_add_f16_e32 v27, v27, v50
	v_mul_f16_e32 v50, 0x3853, v30
	v_add_f16_e32 v1, v36, v1
	v_add_f16_e32 v64, v64, v68
	v_mul_f16_e32 v68, 0x3b47, v55
	v_add_f16_e32 v59, v59, v60
	v_fma_f16 v60, v51, s0, -v67
	v_fma_f16 v53, v19, s3, v50
	v_add_f16_e32 v8, v37, v1
	v_fma_f16 v1, v45, s2, -v24
	v_fma_f16 v69, v54, s2, v68
	v_add_f16_e32 v59, v59, v60
	v_fma_f16 v60, v54, s2, -v68
	v_add_f16_e32 v27, v27, v53
	v_mul_f16_e32 v53, 0xbb47, v17
	v_add_f16_e32 v1, v7, v1
	v_fma_f16 v9, v6, s4, -v29
	v_add_f16_e32 v64, v64, v69
	v_mul_f16_e32 v69, 0xbbad, v45
	v_add_f16_e32 v59, v59, v60
	v_fma_f16 v56, v31, s2, -v53
	v_mul_f16_e32 v60, 0xba0c, v46
	v_add_f16_e32 v1, v1, v9
	v_fma_f16 v9, v16, s0, -v33
	v_fma_f16 v70, v21, s11, v69
	v_mul_f16_e32 v71, 0x3abb, v6
	v_add_f16_e32 v56, v4, v56
	v_fma_f16 v61, v35, s4, -v60
	v_add_f16_e32 v1, v1, v9
	v_fma_f16 v9, v20, s1, -v47
	v_add_f16_e32 v70, v7, v70
	v_fma_f16 v72, v23, s13, v71
	v_add_f16_e32 v56, v56, v61
	v_mul_f16_e32 v61, 0x3482, v49
	v_add_f16_e32 v1, v1, v9
	v_fma_f16 v9, v19, s3, -v50
	v_add_f16_e32 v70, v70, v72
	v_mul_f16_e32 v72, 0xb93d, v16
	v_fma_f16 v62, v48, s0, -v61
	v_add_f16_e32 v9, v1, v9
	v_fma_f16 v1, v31, s2, v53
	v_fma_f16 v73, v26, s9, v72
	v_add_f16_e32 v56, v56, v62
	v_mul_f16_e32 v62, 0x3beb, v52
	v_add_f16_e32 v1, v4, v1
	v_fma_f16 v10, v35, s4, v60
	v_add_f16_e32 v70, v70, v73
	v_mul_f16_e32 v73, 0x36a6, v20
	v_fma_f16 v63, v51, s1, -v62
	v_add_f16_e32 v1, v1, v10
	v_fma_f16 v10, v48, s0, v61
	v_fma_f16 v74, v28, s7, v73
	v_add_f16_e32 v56, v56, v63
	v_mul_f16_e32 v63, 0x3853, v55
	v_add_f16_e32 v1, v1, v10
	v_fma_f16 v10, v51, s1, v62
	v_add_f16_e32 v70, v70, v74
	v_mul_f16_e32 v74, 0xb08e, v19
	v_fma_f16 v69, v21, s5, v69
	v_fma_f16 v65, v54, s3, -v63
	v_mul_f16_e32 v21, 0xb853, v21
	v_add_f16_e32 v1, v1, v10
	v_fma_f16 v10, v54, s3, v63
	v_fma_f16 v75, v30, s6, v74
	v_add_f16_e32 v69, v7, v69
	v_fma_f16 v71, v23, s8, v71
	v_add_f16_e32 v56, v56, v65
	v_fma_f16 v65, v45, s3, v21
	v_mul_f16_e32 v23, 0xbb47, v23
	v_add_f16_e32 v10, v1, v10
	v_fma_f16 v1, v45, s3, -v21
	v_add_f16_e32 v70, v70, v75
	v_mul_f16_e32 v75, 0xb482, v17
	v_add_f16_e32 v69, v69, v71
	v_fma_f16 v71, v26, s14, v72
	v_add_f16_e32 v65, v7, v65
	v_fma_f16 v66, v6, s2, v23
	v_mul_f16_e32 v26, 0xbbeb, v26
	v_add_f16_e32 v1, v7, v1
	v_fma_f16 v6, v6, s2, -v23
	v_fma_f16 v76, v31, s0, v75
	v_mul_f16_e32 v77, 0x3853, v46
	v_add_f16_e32 v69, v69, v71
	v_fma_f16 v71, v28, s12, v73
	v_add_f16_e32 v65, v65, v66
	v_fma_f16 v66, v16, s1, v26
	v_mul_f16_e32 v28, 0xba0c, v28
	v_add_f16_e32 v1, v1, v6
	v_fma_f16 v6, v16, s1, -v26
	v_add_f16_e32 v76, v4, v76
	v_fma_f16 v78, v35, s3, v77
	v_add_f16_e32 v69, v69, v71
	v_fma_f16 v71, v30, s10, v74
	;; [unrolled: 2-line block ×3, first 2 shown]
	v_mul_f16_e32 v30, 0xb482, v30
	v_add_f16_e32 v1, v1, v6
	v_fma_f16 v6, v20, s4, -v28
	v_add_f16_e32 v76, v76, v78
	v_mul_f16_e32 v78, 0xba0c, v49
	v_add_f16_e32 v65, v65, v66
	v_fma_f16 v66, v19, s0, v30
	v_mul_f16_e32 v17, 0xb853, v17
	v_add_f16_e32 v1, v1, v6
	v_fma_f16 v6, v19, s0, -v30
	v_fma_f16 v79, v48, s4, v78
	v_add_f16_e32 v69, v69, v71
	v_fma_f16 v71, v31, s0, -v75
	v_add_f16_e32 v65, v65, v66
	v_fma_f16 v66, v31, s3, -v17
	v_mul_f16_e32 v46, 0xbb47, v46
	v_add_f16_e32 v6, v1, v6
	v_fma_f16 v1, v31, s3, v17
	v_add_f16_e32 v76, v76, v79
	v_mul_f16_e32 v79, 0x3b47, v52
	v_add_f16_e32 v71, v4, v71
	v_add_f16_e32 v66, v4, v66
	v_mul_f16_e32 v49, 0xbbeb, v49
	v_add_f16_e32 v1, v4, v1
	v_fma_f16 v4, v35, s2, v46
	v_fma_f16 v80, v51, s2, v79
	v_fma_f16 v67, v35, s2, -v46
	v_mul_f16_e32 v52, 0xba0c, v52
	v_add_f16_e32 v1, v1, v4
	v_fma_f16 v4, v48, s1, v49
	v_add_f16_e32 v76, v76, v80
	v_mul_f16_e32 v80, 0xbbeb, v55
	v_add_f16_e32 v66, v66, v67
	v_fma_f16 v67, v48, s1, -v49
	v_mul_f16_e32 v55, 0xb482, v55
	v_add_f16_e32 v1, v1, v4
	v_fma_f16 v4, v51, s4, v52
	v_add_f16_e32 v66, v66, v67
	v_fma_f16 v67, v51, s4, -v52
	v_add_f16_e32 v1, v1, v4
	v_fma_f16 v4, v54, s0, v55
	v_add_f16_e32 v66, v66, v67
	v_fma_f16 v67, v54, s0, -v55
	v_add_f16_e32 v4, v1, v4
	v_mov_b32_e32 v1, 0
	v_fma_f16 v72, v35, s3, -v77
	v_add_f16_e32 v66, v66, v67
	v_lshl_add_u64 v[0:1], v[0:1], 2, v[2:3]
	v_pack_b32_f16 v2, v5, v8
	v_add_f16_e32 v71, v71, v72
	v_fma_f16 v72, v48, s4, -v78
	global_store_dword v[0:1], v2, off
	v_pack_b32_f16 v2, v66, v65
	v_add_f16_e32 v71, v71, v72
	v_fma_f16 v72, v51, s2, -v79
	global_store_dword v[0:1], v2, off offset:680
	v_pack_b32_f16 v2, v56, v27
	v_add_f16_e32 v71, v71, v72
	v_fma_f16 v72, v54, s1, -v80
	global_store_dword v[0:1], v2, off offset:1360
	v_pack_b32_f16 v2, v22, v18
	v_fma_f16 v81, v54, s1, v80
	v_add_f16_e32 v71, v71, v72
	global_store_dword v[0:1], v2, off offset:2040
	v_pack_b32_f16 v2, v59, v57
	v_add_f16_e32 v76, v76, v81
	global_store_dword v[0:1], v2, off offset:2720
	v_pack_b32_f16 v2, v71, v69
	global_store_dword v[0:1], v2, off offset:3400
	v_pack_b32_f16 v2, v76, v70
	global_store_dword v[0:1], v2, off offset:4080
	v_add_co_u32_e32 v0, vcc, 0x1000, v0
	v_pack_b32_f16 v2, v64, v58
	s_nop 0
	v_addc_co_u32_e32 v1, vcc, 0, v1, vcc
	global_store_dword v[0:1], v2, off offset:664
	v_pack_b32_f16 v2, v34, v32
	global_store_dword v[0:1], v2, off offset:1344
	v_pack_b32_f16 v2, v10, v9
	;; [unrolled: 2-line block ×3, first 2 shown]
	global_store_dword v[0:1], v2, off offset:2704
	s_endpgm
	.section	.rodata,"a",@progbits
	.p2align	6, 0x0
	.amdhsa_kernel fft_rtc_fwd_len1870_factors_17_10_11_wgs_187_tpt_187_halfLds_half_ip_CI_unitstride_sbrr_dirReg
		.amdhsa_group_segment_fixed_size 0
		.amdhsa_private_segment_fixed_size 0
		.amdhsa_kernarg_size 88
		.amdhsa_user_sgpr_count 2
		.amdhsa_user_sgpr_dispatch_ptr 0
		.amdhsa_user_sgpr_queue_ptr 0
		.amdhsa_user_sgpr_kernarg_segment_ptr 1
		.amdhsa_user_sgpr_dispatch_id 0
		.amdhsa_user_sgpr_kernarg_preload_length 0
		.amdhsa_user_sgpr_kernarg_preload_offset 0
		.amdhsa_user_sgpr_private_segment_size 0
		.amdhsa_uses_dynamic_stack 0
		.amdhsa_enable_private_segment 0
		.amdhsa_system_sgpr_workgroup_id_x 1
		.amdhsa_system_sgpr_workgroup_id_y 0
		.amdhsa_system_sgpr_workgroup_id_z 0
		.amdhsa_system_sgpr_workgroup_info 0
		.amdhsa_system_vgpr_workitem_id 0
		.amdhsa_next_free_vgpr 97
		.amdhsa_next_free_sgpr 37
		.amdhsa_accum_offset 100
		.amdhsa_reserve_vcc 1
		.amdhsa_float_round_mode_32 0
		.amdhsa_float_round_mode_16_64 0
		.amdhsa_float_denorm_mode_32 3
		.amdhsa_float_denorm_mode_16_64 3
		.amdhsa_dx10_clamp 1
		.amdhsa_ieee_mode 1
		.amdhsa_fp16_overflow 0
		.amdhsa_tg_split 0
		.amdhsa_exception_fp_ieee_invalid_op 0
		.amdhsa_exception_fp_denorm_src 0
		.amdhsa_exception_fp_ieee_div_zero 0
		.amdhsa_exception_fp_ieee_overflow 0
		.amdhsa_exception_fp_ieee_underflow 0
		.amdhsa_exception_fp_ieee_inexact 0
		.amdhsa_exception_int_div_zero 0
	.end_amdhsa_kernel
	.text
.Lfunc_end0:
	.size	fft_rtc_fwd_len1870_factors_17_10_11_wgs_187_tpt_187_halfLds_half_ip_CI_unitstride_sbrr_dirReg, .Lfunc_end0-fft_rtc_fwd_len1870_factors_17_10_11_wgs_187_tpt_187_halfLds_half_ip_CI_unitstride_sbrr_dirReg
                                        ; -- End function
	.section	.AMDGPU.csdata,"",@progbits
; Kernel info:
; codeLenInByte = 11100
; NumSgprs: 43
; NumVgprs: 97
; NumAgprs: 0
; TotalNumVgprs: 97
; ScratchSize: 0
; MemoryBound: 0
; FloatMode: 240
; IeeeMode: 1
; LDSByteSize: 0 bytes/workgroup (compile time only)
; SGPRBlocks: 5
; VGPRBlocks: 12
; NumSGPRsForWavesPerEU: 43
; NumVGPRsForWavesPerEU: 97
; AccumOffset: 100
; Occupancy: 4
; WaveLimiterHint : 1
; COMPUTE_PGM_RSRC2:SCRATCH_EN: 0
; COMPUTE_PGM_RSRC2:USER_SGPR: 2
; COMPUTE_PGM_RSRC2:TRAP_HANDLER: 0
; COMPUTE_PGM_RSRC2:TGID_X_EN: 1
; COMPUTE_PGM_RSRC2:TGID_Y_EN: 0
; COMPUTE_PGM_RSRC2:TGID_Z_EN: 0
; COMPUTE_PGM_RSRC2:TIDIG_COMP_CNT: 0
; COMPUTE_PGM_RSRC3_GFX90A:ACCUM_OFFSET: 24
; COMPUTE_PGM_RSRC3_GFX90A:TG_SPLIT: 0
	.text
	.p2alignl 6, 3212836864
	.fill 256, 4, 3212836864
	.type	__hip_cuid_14906afe6357c5f,@object ; @__hip_cuid_14906afe6357c5f
	.section	.bss,"aw",@nobits
	.globl	__hip_cuid_14906afe6357c5f
__hip_cuid_14906afe6357c5f:
	.byte	0                               ; 0x0
	.size	__hip_cuid_14906afe6357c5f, 1

	.ident	"AMD clang version 19.0.0git (https://github.com/RadeonOpenCompute/llvm-project roc-6.4.0 25133 c7fe45cf4b819c5991fe208aaa96edf142730f1d)"
	.section	".note.GNU-stack","",@progbits
	.addrsig
	.addrsig_sym __hip_cuid_14906afe6357c5f
	.amdgpu_metadata
---
amdhsa.kernels:
  - .agpr_count:     0
    .args:
      - .actual_access:  read_only
        .address_space:  global
        .offset:         0
        .size:           8
        .value_kind:     global_buffer
      - .offset:         8
        .size:           8
        .value_kind:     by_value
      - .actual_access:  read_only
        .address_space:  global
        .offset:         16
        .size:           8
        .value_kind:     global_buffer
      - .actual_access:  read_only
        .address_space:  global
        .offset:         24
        .size:           8
        .value_kind:     global_buffer
      - .offset:         32
        .size:           8
        .value_kind:     by_value
      - .actual_access:  read_only
        .address_space:  global
        .offset:         40
        .size:           8
        .value_kind:     global_buffer
      - .actual_access:  read_only
        .address_space:  global
        .offset:         48
        .size:           8
        .value_kind:     global_buffer
      - .offset:         56
        .size:           4
        .value_kind:     by_value
      - .actual_access:  read_only
        .address_space:  global
        .offset:         64
        .size:           8
        .value_kind:     global_buffer
      - .actual_access:  read_only
        .address_space:  global
        .offset:         72
        .size:           8
        .value_kind:     global_buffer
      - .address_space:  global
        .offset:         80
        .size:           8
        .value_kind:     global_buffer
    .group_segment_fixed_size: 0
    .kernarg_segment_align: 8
    .kernarg_segment_size: 88
    .language:       OpenCL C
    .language_version:
      - 2
      - 0
    .max_flat_workgroup_size: 187
    .name:           fft_rtc_fwd_len1870_factors_17_10_11_wgs_187_tpt_187_halfLds_half_ip_CI_unitstride_sbrr_dirReg
    .private_segment_fixed_size: 0
    .sgpr_count:     43
    .sgpr_spill_count: 0
    .symbol:         fft_rtc_fwd_len1870_factors_17_10_11_wgs_187_tpt_187_halfLds_half_ip_CI_unitstride_sbrr_dirReg.kd
    .uniform_work_group_size: 1
    .uses_dynamic_stack: false
    .vgpr_count:     97
    .vgpr_spill_count: 0
    .wavefront_size: 64
amdhsa.target:   amdgcn-amd-amdhsa--gfx950
amdhsa.version:
  - 1
  - 2
...

	.end_amdgpu_metadata
